;; amdgpu-corpus repo=ROCm/rocFFT kind=compiled arch=gfx1030 opt=O3
	.text
	.amdgcn_target "amdgcn-amd-amdhsa--gfx1030"
	.amdhsa_code_object_version 6
	.protected	fft_rtc_back_len66_factors_6_11_wgs_253_tpt_11_dp_op_CI_CI_sbrr_dirReg ; -- Begin function fft_rtc_back_len66_factors_6_11_wgs_253_tpt_11_dp_op_CI_CI_sbrr_dirReg
	.globl	fft_rtc_back_len66_factors_6_11_wgs_253_tpt_11_dp_op_CI_CI_sbrr_dirReg
	.p2align	8
	.type	fft_rtc_back_len66_factors_6_11_wgs_253_tpt_11_dp_op_CI_CI_sbrr_dirReg,@function
fft_rtc_back_len66_factors_6_11_wgs_253_tpt_11_dp_op_CI_CI_sbrr_dirReg: ; @fft_rtc_back_len66_factors_6_11_wgs_253_tpt_11_dp_op_CI_CI_sbrr_dirReg
; %bb.0:
	s_clause 0x1
	s_load_dwordx4 s[16:19], s[4:5], 0x18
	s_load_dwordx4 s[12:15], s[4:5], 0x0
	v_mul_u32_u24_e32 v1, 0x1746, v0
	v_mov_b32_e32 v4, 0
	v_mov_b32_e32 v5, 0
	s_load_dwordx4 s[8:11], s[4:5], 0x58
	s_waitcnt lgkmcnt(0)
	s_load_dwordx2 s[20:21], s[16:17], 0x0
	s_load_dwordx2 s[2:3], s[18:19], 0x0
	v_lshrrev_b32_e32 v2, 16, v1
	v_mov_b32_e32 v1, 0
	v_cmp_lt_u64_e64 s0, s[14:15], 2
	v_mov_b32_e32 v85, v5
	v_mov_b32_e32 v84, v4
	v_mad_u64_u32 v[24:25], null, s6, 23, v[2:3]
	v_mov_b32_e32 v25, v1
	s_and_b32 vcc_lo, exec_lo, s0
	v_mov_b32_e32 v89, v25
	v_mov_b32_e32 v88, v24
	s_cbranch_vccnz .LBB0_8
; %bb.1:
	s_load_dwordx2 s[0:1], s[4:5], 0x10
	v_mov_b32_e32 v4, 0
	v_mov_b32_e32 v5, 0
	s_add_u32 s6, s18, 8
	v_mov_b32_e32 v6, v24
	s_addc_u32 s7, s19, 0
	v_mov_b32_e32 v7, v25
	v_mov_b32_e32 v85, v5
	s_add_u32 s22, s16, 8
	v_mov_b32_e32 v84, v4
	s_addc_u32 s23, s17, 0
	s_mov_b64 s[26:27], 1
	s_waitcnt lgkmcnt(0)
	s_add_u32 s24, s0, 8
	s_addc_u32 s25, s1, 0
.LBB0_2:                                ; =>This Inner Loop Header: Depth=1
	s_load_dwordx2 s[28:29], s[24:25], 0x0
                                        ; implicit-def: $vgpr88_vgpr89
	s_mov_b32 s0, exec_lo
	s_waitcnt lgkmcnt(0)
	v_or_b32_e32 v2, s29, v7
	v_cmpx_ne_u64_e32 0, v[1:2]
	s_xor_b32 s1, exec_lo, s0
	s_cbranch_execz .LBB0_4
; %bb.3:                                ;   in Loop: Header=BB0_2 Depth=1
	v_cvt_f32_u32_e32 v2, s28
	v_cvt_f32_u32_e32 v3, s29
	s_sub_u32 s0, 0, s28
	s_subb_u32 s30, 0, s29
	v_fmac_f32_e32 v2, 0x4f800000, v3
	v_rcp_f32_e32 v2, v2
	v_mul_f32_e32 v2, 0x5f7ffffc, v2
	v_mul_f32_e32 v3, 0x2f800000, v2
	v_trunc_f32_e32 v3, v3
	v_fmac_f32_e32 v2, 0xcf800000, v3
	v_cvt_u32_f32_e32 v3, v3
	v_cvt_u32_f32_e32 v2, v2
	v_mul_lo_u32 v8, s0, v3
	v_mul_hi_u32 v9, s0, v2
	v_mul_lo_u32 v10, s30, v2
	v_add_nc_u32_e32 v8, v9, v8
	v_mul_lo_u32 v9, s0, v2
	v_add_nc_u32_e32 v8, v8, v10
	v_mul_hi_u32 v10, v2, v9
	v_mul_lo_u32 v11, v2, v8
	v_mul_hi_u32 v12, v2, v8
	v_mul_hi_u32 v13, v3, v9
	v_mul_lo_u32 v9, v3, v9
	v_mul_hi_u32 v14, v3, v8
	v_mul_lo_u32 v8, v3, v8
	v_add_co_u32 v10, vcc_lo, v10, v11
	v_add_co_ci_u32_e32 v11, vcc_lo, 0, v12, vcc_lo
	v_add_co_u32 v9, vcc_lo, v10, v9
	v_add_co_ci_u32_e32 v9, vcc_lo, v11, v13, vcc_lo
	v_add_co_ci_u32_e32 v10, vcc_lo, 0, v14, vcc_lo
	v_add_co_u32 v8, vcc_lo, v9, v8
	v_add_co_ci_u32_e32 v9, vcc_lo, 0, v10, vcc_lo
	v_add_co_u32 v2, vcc_lo, v2, v8
	v_add_co_ci_u32_e32 v3, vcc_lo, v3, v9, vcc_lo
	v_mul_hi_u32 v8, s0, v2
	v_mul_lo_u32 v10, s30, v2
	v_mul_lo_u32 v9, s0, v3
	v_add_nc_u32_e32 v8, v8, v9
	v_mul_lo_u32 v9, s0, v2
	v_add_nc_u32_e32 v8, v8, v10
	v_mul_hi_u32 v10, v2, v9
	v_mul_lo_u32 v11, v2, v8
	v_mul_hi_u32 v12, v2, v8
	v_mul_hi_u32 v13, v3, v9
	v_mul_lo_u32 v9, v3, v9
	v_mul_hi_u32 v14, v3, v8
	v_mul_lo_u32 v8, v3, v8
	v_add_co_u32 v10, vcc_lo, v10, v11
	v_add_co_ci_u32_e32 v11, vcc_lo, 0, v12, vcc_lo
	v_add_co_u32 v9, vcc_lo, v10, v9
	v_add_co_ci_u32_e32 v9, vcc_lo, v11, v13, vcc_lo
	v_add_co_ci_u32_e32 v10, vcc_lo, 0, v14, vcc_lo
	v_add_co_u32 v8, vcc_lo, v9, v8
	v_add_co_ci_u32_e32 v9, vcc_lo, 0, v10, vcc_lo
	v_add_co_u32 v8, vcc_lo, v2, v8
	v_add_co_ci_u32_e32 v10, vcc_lo, v3, v9, vcc_lo
	v_mul_hi_u32 v12, v6, v8
	v_mad_u64_u32 v[8:9], null, v7, v8, 0
	v_mad_u64_u32 v[2:3], null, v6, v10, 0
	v_mad_u64_u32 v[10:11], null, v7, v10, 0
	v_add_co_u32 v2, vcc_lo, v12, v2
	v_add_co_ci_u32_e32 v3, vcc_lo, 0, v3, vcc_lo
	v_add_co_u32 v2, vcc_lo, v2, v8
	v_add_co_ci_u32_e32 v2, vcc_lo, v3, v9, vcc_lo
	v_add_co_ci_u32_e32 v3, vcc_lo, 0, v11, vcc_lo
	v_add_co_u32 v8, vcc_lo, v2, v10
	v_add_co_ci_u32_e32 v9, vcc_lo, 0, v3, vcc_lo
	v_mul_lo_u32 v10, s29, v8
	v_mad_u64_u32 v[2:3], null, s28, v8, 0
	v_mul_lo_u32 v11, s28, v9
	v_sub_co_u32 v2, vcc_lo, v6, v2
	v_add3_u32 v3, v3, v11, v10
	v_sub_nc_u32_e32 v10, v7, v3
	v_subrev_co_ci_u32_e64 v10, s0, s29, v10, vcc_lo
	v_add_co_u32 v11, s0, v8, 2
	v_add_co_ci_u32_e64 v12, s0, 0, v9, s0
	v_sub_co_u32 v13, s0, v2, s28
	v_sub_co_ci_u32_e32 v3, vcc_lo, v7, v3, vcc_lo
	v_subrev_co_ci_u32_e64 v10, s0, 0, v10, s0
	v_cmp_le_u32_e32 vcc_lo, s28, v13
	v_cmp_eq_u32_e64 s0, s29, v3
	v_cndmask_b32_e64 v13, 0, -1, vcc_lo
	v_cmp_le_u32_e32 vcc_lo, s29, v10
	v_cndmask_b32_e64 v14, 0, -1, vcc_lo
	v_cmp_le_u32_e32 vcc_lo, s28, v2
	;; [unrolled: 2-line block ×3, first 2 shown]
	v_cndmask_b32_e64 v15, 0, -1, vcc_lo
	v_cmp_eq_u32_e32 vcc_lo, s29, v10
	v_cndmask_b32_e64 v2, v15, v2, s0
	v_cndmask_b32_e32 v10, v14, v13, vcc_lo
	v_add_co_u32 v13, vcc_lo, v8, 1
	v_add_co_ci_u32_e32 v14, vcc_lo, 0, v9, vcc_lo
	v_cmp_ne_u32_e32 vcc_lo, 0, v10
	v_cndmask_b32_e32 v3, v14, v12, vcc_lo
	v_cndmask_b32_e32 v10, v13, v11, vcc_lo
	v_cmp_ne_u32_e32 vcc_lo, 0, v2
	v_cndmask_b32_e32 v89, v9, v3, vcc_lo
	v_cndmask_b32_e32 v88, v8, v10, vcc_lo
.LBB0_4:                                ;   in Loop: Header=BB0_2 Depth=1
	s_andn2_saveexec_b32 s0, s1
	s_cbranch_execz .LBB0_6
; %bb.5:                                ;   in Loop: Header=BB0_2 Depth=1
	v_cvt_f32_u32_e32 v2, s28
	s_sub_i32 s1, 0, s28
	v_mov_b32_e32 v89, v1
	v_rcp_iflag_f32_e32 v2, v2
	v_mul_f32_e32 v2, 0x4f7ffffe, v2
	v_cvt_u32_f32_e32 v2, v2
	v_mul_lo_u32 v3, s1, v2
	v_mul_hi_u32 v3, v2, v3
	v_add_nc_u32_e32 v2, v2, v3
	v_mul_hi_u32 v2, v6, v2
	v_mul_lo_u32 v3, v2, s28
	v_add_nc_u32_e32 v8, 1, v2
	v_sub_nc_u32_e32 v3, v6, v3
	v_subrev_nc_u32_e32 v9, s28, v3
	v_cmp_le_u32_e32 vcc_lo, s28, v3
	v_cndmask_b32_e32 v3, v3, v9, vcc_lo
	v_cndmask_b32_e32 v2, v2, v8, vcc_lo
	v_cmp_le_u32_e32 vcc_lo, s28, v3
	v_add_nc_u32_e32 v8, 1, v2
	v_cndmask_b32_e32 v88, v2, v8, vcc_lo
.LBB0_6:                                ;   in Loop: Header=BB0_2 Depth=1
	s_or_b32 exec_lo, exec_lo, s0
	v_mul_lo_u32 v8, v89, s28
	v_mul_lo_u32 v9, v88, s29
	s_load_dwordx2 s[0:1], s[22:23], 0x0
	v_mad_u64_u32 v[2:3], null, v88, s28, 0
	s_load_dwordx2 s[28:29], s[6:7], 0x0
	s_add_u32 s26, s26, 1
	s_addc_u32 s27, s27, 0
	s_add_u32 s6, s6, 8
	s_addc_u32 s7, s7, 0
	s_add_u32 s22, s22, 8
	v_add3_u32 v3, v3, v9, v8
	v_sub_co_u32 v2, vcc_lo, v6, v2
	s_addc_u32 s23, s23, 0
	s_add_u32 s24, s24, 8
	v_sub_co_ci_u32_e32 v3, vcc_lo, v7, v3, vcc_lo
	s_addc_u32 s25, s25, 0
	s_waitcnt lgkmcnt(0)
	v_mul_lo_u32 v6, s0, v3
	v_mul_lo_u32 v7, s1, v2
	v_mad_u64_u32 v[4:5], null, s0, v2, v[4:5]
	v_mul_lo_u32 v3, s28, v3
	v_mul_lo_u32 v8, s29, v2
	v_mad_u64_u32 v[84:85], null, s28, v2, v[84:85]
	v_cmp_ge_u64_e64 s0, s[26:27], s[14:15]
	v_add3_u32 v5, v7, v5, v6
	v_add3_u32 v85, v8, v85, v3
	s_and_b32 vcc_lo, exec_lo, s0
	s_cbranch_vccnz .LBB0_8
; %bb.7:                                ;   in Loop: Header=BB0_2 Depth=1
	v_mov_b32_e32 v6, v88
	v_mov_b32_e32 v7, v89
	s_branch .LBB0_2
.LBB0_8:
	s_load_dwordx2 s[0:1], s[4:5], 0x28
	v_mul_hi_u32 v1, 0x1745d175, v0
	s_lshl_b64 s[6:7], s[14:15], 3
                                        ; implicit-def: $vgpr90
	s_add_u32 s4, s18, s6
	s_addc_u32 s5, s19, s7
	s_waitcnt lgkmcnt(0)
	v_cmp_gt_u64_e32 vcc_lo, s[0:1], v[88:89]
	v_cmp_le_u64_e64 s0, s[0:1], v[88:89]
	s_and_saveexec_b32 s1, s0
	s_xor_b32 s0, exec_lo, s1
; %bb.9:
	v_mul_u32_u24_e32 v1, 11, v1
                                        ; implicit-def: $vgpr4_vgpr5
	v_sub_nc_u32_e32 v90, v0, v1
                                        ; implicit-def: $vgpr1
                                        ; implicit-def: $vgpr0
; %bb.10:
	s_or_saveexec_b32 s14, s0
                                        ; implicit-def: $vgpr6_vgpr7
                                        ; implicit-def: $vgpr2_vgpr3
                                        ; implicit-def: $vgpr22_vgpr23
                                        ; implicit-def: $vgpr14_vgpr15
                                        ; implicit-def: $vgpr18_vgpr19
                                        ; implicit-def: $vgpr10_vgpr11
	s_xor_b32 exec_lo, exec_lo, s14
	s_cbranch_execz .LBB0_12
; %bb.11:
	s_add_u32 s0, s16, s6
	s_addc_u32 s1, s17, s7
	v_mul_u32_u24_e32 v1, 11, v1
	s_load_dwordx2 s[0:1], s[0:1], 0x0
	v_sub_nc_u32_e32 v90, v0, v1
	v_lshlrev_b64 v[0:1], 4, v[4:5]
	v_add_nc_u32_e32 v15, 11, v90
	v_mad_u64_u32 v[2:3], null, s20, v90, 0
	v_add_nc_u32_e32 v17, 22, v90
	v_add_nc_u32_e32 v18, 33, v90
	v_mad_u64_u32 v[4:5], null, s20, v15, 0
	v_add_nc_u32_e32 v19, 44, v90
	v_mad_u64_u32 v[6:7], null, s20, v17, 0
	v_mad_u64_u32 v[10:11], null, s20, v18, 0
	s_waitcnt lgkmcnt(0)
	v_mul_lo_u32 v16, s1, v88
	v_mul_lo_u32 v20, s0, v89
	v_mad_u64_u32 v[8:9], null, s0, v88, 0
	v_mad_u64_u32 v[12:13], null, s21, v90, v[3:4]
	v_add_nc_u32_e32 v21, 55, v90
	v_mad_u64_u32 v[13:14], null, s20, v19, 0
	v_add3_u32 v9, v9, v20, v16
	v_mad_u64_u32 v[15:16], null, s21, v15, v[5:6]
	v_mov_b32_e32 v3, v12
	v_lshlrev_b64 v[8:9], 4, v[8:9]
	v_lshlrev_b64 v[2:3], 4, v[2:3]
	v_mov_b32_e32 v5, v15
	v_mad_u64_u32 v[16:17], null, s21, v17, v[7:8]
	v_add_co_u32 v7, s0, s8, v8
	v_add_co_ci_u32_e64 v8, s0, s9, v9, s0
	v_lshlrev_b64 v[4:5], 4, v[4:5]
	v_add_co_u32 v17, s0, v7, v0
	v_add_co_ci_u32_e64 v22, s0, v8, v1, s0
	v_mad_u64_u32 v[0:1], null, s21, v18, v[11:12]
	v_mad_u64_u32 v[8:9], null, s20, v21, 0
	v_add_co_u32 v1, s0, v17, v2
	v_add_co_ci_u32_e64 v2, s0, v22, v3, s0
	v_mov_b32_e32 v3, v14
	v_mov_b32_e32 v11, v0
	;; [unrolled: 1-line block ×4, first 2 shown]
	v_mad_u64_u32 v[14:15], null, s21, v19, v[3:4]
	v_mad_u64_u32 v[15:16], null, s21, v21, v[0:1]
	v_add_co_u32 v3, s0, v17, v4
	v_add_co_ci_u32_e64 v4, s0, v22, v5, s0
	v_lshlrev_b64 v[5:6], 4, v[6:7]
	v_lshlrev_b64 v[10:11], 4, v[10:11]
	v_mov_b32_e32 v9, v15
	v_lshlrev_b64 v[12:13], 4, v[13:14]
	v_add_co_u32 v5, s0, v17, v5
	v_add_co_ci_u32_e64 v6, s0, v22, v6, s0
	v_add_co_u32 v20, s0, v17, v10
	v_lshlrev_b64 v[7:8], 4, v[8:9]
	v_add_co_ci_u32_e64 v21, s0, v22, v11, s0
	v_add_co_u32 v25, s0, v17, v12
	v_add_co_ci_u32_e64 v26, s0, v22, v13, s0
	v_add_co_u32 v27, s0, v17, v7
	v_add_co_ci_u32_e64 v28, s0, v22, v8, s0
	s_clause 0x5
	global_load_dwordx4 v[8:11], v[1:2], off
	global_load_dwordx4 v[16:19], v[3:4], off
	;; [unrolled: 1-line block ×6, first 2 shown]
.LBB0_12:
	s_or_b32 exec_lo, exec_lo, s14
	s_waitcnt vmcnt(0)
	v_add_f64 v[25:26], v[6:7], v[22:23]
	v_add_f64 v[27:28], v[4:5], v[20:21]
	v_add_f64 v[29:30], v[20:21], -v[4:5]
	v_add_f64 v[31:32], v[22:23], -v[6:7]
	s_mov_b32 s0, 0xe8584caa
	s_mov_b32 s1, 0xbfebb67a
	;; [unrolled: 1-line block ×4, first 2 shown]
	v_add_f64 v[33:34], v[0:1], v[12:13]
	v_add_f64 v[35:36], v[2:3], v[14:15]
	;; [unrolled: 1-line block ×3, first 2 shown]
	v_add_f64 v[41:42], v[14:15], -v[2:3]
	v_add_f64 v[14:15], v[14:15], v[10:11]
	v_add_f64 v[12:13], v[12:13], -v[0:1]
	s_load_dwordx2 s[4:5], s[4:5], 0x0
	v_fma_f64 v[25:26], v[25:26], -0.5, v[18:19]
	v_fma_f64 v[27:28], v[27:28], -0.5, v[16:17]
	v_add_f64 v[16:17], v[20:21], v[16:17]
	v_add_f64 v[18:19], v[22:23], v[18:19]
	v_fma_f64 v[8:9], v[33:34], -0.5, v[8:9]
	v_fma_f64 v[10:11], v[35:36], -0.5, v[10:11]
	v_add_f64 v[33:34], v[0:1], v[39:40]
	v_mul_hi_u32 v0, 0xb21642c9, v24
	v_add_f64 v[14:15], v[2:3], v[14:15]
	v_lshrrev_b32_e32 v0, 4, v0
	v_fma_f64 v[37:38], v[29:30], s[6:7], v[25:26]
	v_fma_f64 v[25:26], v[29:30], s[0:1], v[25:26]
	;; [unrolled: 1-line block ×4, first 2 shown]
	v_add_f64 v[4:5], v[4:5], v[16:17]
	v_add_f64 v[6:7], v[6:7], v[18:19]
	v_fma_f64 v[16:17], v[41:42], s[0:1], v[8:9]
	v_fma_f64 v[18:19], v[41:42], s[6:7], v[8:9]
	v_fma_f64 v[35:36], v[12:13], s[6:7], v[10:11]
	v_fma_f64 v[39:40], v[12:13], s[0:1], v[10:11]
                                        ; implicit-def: $vgpr42_vgpr43
	v_mul_f64 v[22:23], v[37:38], s[0:1]
	v_mul_f64 v[27:28], v[25:26], s[0:1]
	;; [unrolled: 1-line block ×3, first 2 shown]
	v_mul_f64 v[25:26], v[25:26], -0.5
	v_add_f64 v[12:13], v[33:34], -v[4:5]
	v_add_f64 v[2:3], v[6:7], v[14:15]
	v_add_f64 v[14:15], v[14:15], -v[6:7]
	v_cmp_gt_u32_e64 s0, 6, v90
	v_fma_f64 v[22:23], v[29:30], 0.5, v[22:23]
	v_fma_f64 v[27:28], v[20:21], -0.5, v[27:28]
	v_fma_f64 v[29:30], v[37:38], 0.5, v[31:32]
	v_fma_f64 v[25:26], v[20:21], s[6:7], v[25:26]
	v_mul_lo_u32 v31, v0, 23
	v_add_f64 v[0:1], v[4:5], v[33:34]
	v_add_f64 v[8:9], v[16:17], v[22:23]
	;; [unrolled: 1-line block ×5, first 2 shown]
	v_add_f64 v[16:17], v[16:17], -v[22:23]
	v_add_f64 v[20:21], v[18:19], -v[27:28]
	v_add_f64 v[18:19], v[35:36], -v[29:30]
	v_add_f64 v[22:23], v[39:40], -v[25:26]
	v_mul_u32_u24_e32 v25, 6, v90
	v_sub_nc_u32_e32 v26, v24, v31
                                        ; implicit-def: $vgpr30_vgpr31
                                        ; implicit-def: $vgpr38_vgpr39
                                        ; implicit-def: $vgpr34_vgpr35
	v_lshl_add_u32 v24, v25, 4, 0
	v_mul_u32_u24_e32 v25, 0x42, v26
	v_lshl_add_u32 v26, v25, 4, v24
	ds_write_b128 v26, v[0:3]
	ds_write_b128 v26, v[12:15] offset:48
	ds_write_b128 v26, v[8:11] offset:16
	ds_write_b128 v26, v[4:7] offset:32
	ds_write_b128 v26, v[16:19] offset:64
	ds_write_b128 v26, v[20:23] offset:80
	s_waitcnt lgkmcnt(0)
	s_barrier
	buffer_gl0_inv
                                        ; implicit-def: $vgpr26_vgpr27
	s_and_saveexec_b32 s1, s0
	s_cbranch_execz .LBB0_14
; %bb.13:
	v_lshlrev_b32_e32 v0, 4, v25
	v_lshlrev_b32_e32 v1, 4, v90
	v_mul_i32_i24_e32 v2, 0xffffffb0, v90
	v_add3_u32 v1, 0, v0, v1
	v_add3_u32 v40, v24, v2, v0
	ds_read_b128 v[0:3], v1
	ds_read_b128 v[8:11], v40 offset:96
	ds_read_b128 v[4:7], v40 offset:192
	;; [unrolled: 1-line block ×10, first 2 shown]
.LBB0_14:
	s_or_b32 exec_lo, exec_lo, s1
	v_cmp_gt_u32_e64 s1, 6, v90
	s_and_b32 s1, vcc_lo, s1
	s_and_saveexec_b32 s6, s1
	s_cbranch_execz .LBB0_16
; %bb.15:
	v_add_nc_u32_e32 v44, -6, v90
	v_mov_b32_e32 v45, 0
	v_mul_lo_u32 v91, s5, v88
	v_mul_lo_u32 v92, s4, v89
	v_mad_u64_u32 v[88:89], null, s4, v88, 0
	v_cndmask_b32_e64 v44, v44, v90, s0
	v_add_nc_u32_e32 v113, 6, v90
	v_add_nc_u32_e32 v114, 12, v90
	;; [unrolled: 1-line block ×3, first 2 shown]
	v_or_b32_e32 v116, 24, v90
	v_mul_i32_i24_e32 v44, 10, v44
	v_add_nc_u32_e32 v117, 30, v90
	v_add_nc_u32_e32 v118, 36, v90
	v_mad_u64_u32 v[86:87], null, s2, v90, 0
	v_lshlrev_b64 v[44:45], 4, v[44:45]
	v_add_nc_u32_e32 v119, 42, v90
	v_mad_u64_u32 v[93:94], null, s2, v113, 0
	v_mad_u64_u32 v[95:96], null, s2, v114, 0
	v_add_co_u32 v72, vcc_lo, s12, v44
	v_add_co_ci_u32_e32 v73, vcc_lo, s13, v45, vcc_lo
	v_add_nc_u32_e32 v122, 60, v90
	v_mad_u64_u32 v[97:98], null, s2, v115, 0
	s_clause 0x9
	global_load_dwordx4 v[44:47], v[72:73], off offset:64
	global_load_dwordx4 v[48:51], v[72:73], off offset:80
	;; [unrolled: 1-line block ×5, first 2 shown]
	global_load_dwordx4 v[68:71], v[72:73], off
	global_load_dwordx4 v[64:67], v[72:73], off offset:112
	global_load_dwordx4 v[80:83], v[72:73], off offset:144
	;; [unrolled: 1-line block ×4, first 2 shown]
	v_mad_u64_u32 v[99:100], null, s2, v116, 0
	v_or_b32_e32 v120, 48, v90
	v_mad_u64_u32 v[101:102], null, s2, v117, 0
	v_add3_u32 v89, v89, v92, v91
	v_add_nc_u32_e32 v121, 54, v90
	v_mad_u64_u32 v[103:104], null, s2, v118, 0
	v_mad_u64_u32 v[105:106], null, s2, v119, 0
	;; [unrolled: 1-line block ×5, first 2 shown]
	v_lshlrev_b64 v[87:88], 4, v[88:89]
	v_mov_b32_e32 v89, v94
	v_mov_b32_e32 v90, v96
	v_mad_u64_u32 v[109:110], null, s2, v121, 0
	v_mov_b32_e32 v94, v98
	v_mov_b32_e32 v96, v100
	;; [unrolled: 1-line block ×5, first 2 shown]
	v_mad_u64_u32 v[112:113], null, s3, v113, v[89:90]
	v_mad_u64_u32 v[89:90], null, s3, v114, v[90:91]
	;; [unrolled: 1-line block ×4, first 2 shown]
	v_mov_b32_e32 v104, v108
	v_mad_u64_u32 v[115:116], null, s3, v117, v[98:99]
	v_mov_b32_e32 v106, v110
	v_mad_u64_u32 v[116:117], null, s3, v118, v[100:101]
	v_mad_u64_u32 v[117:118], null, s3, v119, v[102:103]
	;; [unrolled: 1-line block ×4, first 2 shown]
	v_lshlrev_b64 v[84:85], 4, v[84:85]
	v_mad_u64_u32 v[120:121], null, s3, v122, v[92:93]
	v_add_co_u32 v90, vcc_lo, s10, v87
	v_add_co_ci_u32_e32 v88, vcc_lo, s11, v88, vcc_lo
	v_mov_b32_e32 v87, v111
	v_mov_b32_e32 v94, v112
	v_mov_b32_e32 v96, v89
	v_mov_b32_e32 v98, v113
	v_mov_b32_e32 v100, v114
	v_mov_b32_e32 v102, v115
	v_mov_b32_e32 v104, v116
	v_mov_b32_e32 v106, v117
	v_add_co_u32 v247, vcc_lo, v90, v84
	v_add_co_ci_u32_e32 v248, vcc_lo, v88, v85, vcc_lo
	v_lshlrev_b64 v[84:85], 4, v[86:87]
	v_mov_b32_e32 v110, v119
	v_mov_b32_e32 v92, v120
	v_lshlrev_b64 v[86:87], 4, v[93:94]
	v_lshlrev_b64 v[88:89], 4, v[95:96]
	;; [unrolled: 1-line block ×7, first 2 shown]
	v_mov_b32_e32 v108, v118
	v_add_co_u32 v84, vcc_lo, v247, v84
	v_add_co_ci_u32_e32 v85, vcc_lo, v248, v85, vcc_lo
	v_add_co_u32 v86, vcc_lo, v247, v86
	v_add_co_ci_u32_e32 v87, vcc_lo, v248, v87, vcc_lo
	;; [unrolled: 2-line block ×4, first 2 shown]
	s_mov_b32 s13, 0x3fed1bb4
	s_mov_b32 s12, 0x8eee2c13
	;; [unrolled: 1-line block ×26, first 2 shown]
	v_lshlrev_b64 v[90:91], 4, v[91:92]
	s_waitcnt vmcnt(9) lgkmcnt(5)
	v_mul_f64 v[103:104], v[22:23], v[46:47]
	v_mul_f64 v[46:47], v[20:21], v[46:47]
	s_waitcnt vmcnt(8) lgkmcnt(4)
	v_mul_f64 v[105:106], v[26:27], v[50:51]
	v_mul_f64 v[50:51], v[24:25], v[50:51]
	s_waitcnt vmcnt(7)
	v_mul_f64 v[111:112], v[18:19], v[54:55]
	v_mul_f64 v[54:55], v[16:17], v[54:55]
	s_waitcnt vmcnt(6) lgkmcnt(3)
	v_mul_f64 v[113:114], v[34:35], v[62:63]
	v_mul_f64 v[62:63], v[32:33], v[62:63]
	s_waitcnt vmcnt(5)
	v_mul_f64 v[115:116], v[14:15], v[58:59]
	v_mul_f64 v[58:59], v[12:13], v[58:59]
	s_waitcnt vmcnt(3) lgkmcnt(2)
	v_mul_f64 v[119:120], v[38:39], v[66:67]
	v_mul_f64 v[66:67], v[36:37], v[66:67]
	;; [unrolled: 1-line block ×4, first 2 shown]
	s_waitcnt vmcnt(2) lgkmcnt(0)
	v_mul_f64 v[121:122], v[42:43], v[82:83]
	v_mul_f64 v[82:83], v[40:41], v[82:83]
	s_waitcnt vmcnt(1)
	v_mul_f64 v[123:124], v[4:5], v[78:79]
	v_fma_f64 v[20:21], v[20:21], v[44:45], v[103:104]
	v_fma_f64 v[22:23], v[22:23], v[44:45], -v[46:47]
	v_fma_f64 v[24:25], v[24:25], v[48:49], v[105:106]
	v_fma_f64 v[26:27], v[26:27], v[48:49], -v[50:51]
	;; [unrolled: 2-line block ×6, first 2 shown]
	v_fma_f64 v[10:11], v[10:11], v[68:69], -v[117:118]
	v_fma_f64 v[8:9], v[8:9], v[68:69], v[70:71]
	v_fma_f64 v[40:41], v[40:41], v[80:81], v[121:122]
	v_fma_f64 v[42:43], v[42:43], v[80:81], -v[82:83]
	v_mul_f64 v[46:47], v[6:7], v[78:79]
	s_waitcnt vmcnt(0)
	v_mul_f64 v[48:49], v[30:31], v[74:75]
	v_mul_f64 v[50:51], v[28:29], v[74:75]
	v_fma_f64 v[6:7], v[6:7], v[76:77], -v[123:124]
	v_add_co_u32 v44, vcc_lo, v247, v95
	v_add_co_ci_u32_e32 v45, vcc_lo, v248, v96, vcc_lo
	v_add_f64 v[56:57], v[20:21], -v[24:25]
	v_add_f64 v[66:67], v[22:23], -v[26:27]
	v_add_co_u32 v52, vcc_lo, v247, v97
	v_add_f64 v[58:59], v[16:17], -v[32:33]
	v_add_f64 v[64:65], v[18:19], -v[34:35]
	v_add_co_ci_u32_e32 v53, vcc_lo, v248, v98, vcc_lo
	v_add_f64 v[60:61], v[12:13], -v[36:37]
	v_add_f64 v[70:71], v[14:15], -v[38:39]
	v_add_f64 v[54:55], v[2:3], v[10:11]
	v_add_co_u32 v68, vcc_lo, v247, v99
	v_add_f64 v[62:63], v[8:9], -v[40:41]
	v_add_f64 v[74:75], v[10:11], -v[42:43]
	v_add_co_ci_u32_e32 v69, vcc_lo, v248, v100, vcc_lo
	v_add_co_u32 v78, vcc_lo, v247, v101
	v_add_co_ci_u32_e32 v79, vcc_lo, v248, v102, vcc_lo
	v_fma_f64 v[4:5], v[4:5], v[76:77], v[46:47]
	v_fma_f64 v[28:29], v[28:29], v[72:73], v[48:49]
	v_fma_f64 v[30:31], v[30:31], v[72:73], -v[50:51]
	v_mul_f64 v[80:81], v[56:57], s[12:13]
	v_mul_f64 v[82:83], v[66:67], s[12:13]
	;; [unrolled: 1-line block ×4, first 2 shown]
	v_add_f64 v[46:47], v[0:1], v[8:9]
	v_add_f64 v[10:11], v[10:11], v[42:43]
	v_mul_f64 v[97:98], v[60:61], s[12:13]
	v_mul_f64 v[101:102], v[70:71], s[12:13]
	s_mov_b32 s13, 0xbfed1bb4
	v_add_f64 v[8:9], v[8:9], v[40:41]
	v_add_f64 v[54:55], v[6:7], v[54:55]
	v_mul_f64 v[95:96], v[62:63], s[8:9]
	v_mul_f64 v[99:100], v[62:63], s[6:7]
	;; [unrolled: 1-line block ×10, first 2 shown]
	v_add_f64 v[48:49], v[18:19], v[34:35]
	v_add_f64 v[50:51], v[14:15], v[38:39]
	v_mul_f64 v[119:120], v[60:61], s[6:7]
	v_mul_f64 v[121:122], v[60:61], s[24:25]
	;; [unrolled: 1-line block ×8, first 2 shown]
	v_add_f64 v[46:47], v[4:5], v[46:47]
	v_add_f64 v[14:15], v[14:15], v[54:55]
	v_fma_f64 v[54:55], v[10:11], s[16:17], v[95:96]
	v_fma_f64 v[95:96], v[10:11], s[16:17], -v[95:96]
	v_fma_f64 v[131:132], v[10:11], s[18:19], v[99:100]
	v_fma_f64 v[99:100], v[10:11], s[18:19], -v[99:100]
	;; [unrolled: 2-line block ×4, first 2 shown]
	v_fma_f64 v[137:138], v[8:9], s[16:17], -v[111:112]
	v_fma_f64 v[111:112], v[8:9], s[16:17], v[111:112]
	v_fma_f64 v[139:140], v[8:9], s[18:19], -v[113:114]
	v_fma_f64 v[113:114], v[8:9], s[18:19], v[113:114]
	;; [unrolled: 2-line block ×4, first 2 shown]
	v_fma_f64 v[153:154], v[10:11], s[20:21], v[62:63]
	v_fma_f64 v[10:11], v[10:11], s[20:21], -v[62:63]
	v_fma_f64 v[62:63], v[8:9], s[20:21], -v[74:75]
	v_fma_f64 v[8:9], v[8:9], s[20:21], v[74:75]
	v_fma_f64 v[145:146], v[50:51], s[18:19], v[119:120]
	;; [unrolled: 1-line block ×3, first 2 shown]
	v_fma_f64 v[119:120], v[50:51], s[18:19], -v[119:120]
	v_fma_f64 v[72:73], v[48:49], s[20:21], -v[72:73]
	v_fma_f64 v[149:150], v[50:51], s[14:15], v[121:122]
	v_fma_f64 v[151:152], v[48:49], s[16:17], v[123:124]
	v_fma_f64 v[121:122], v[50:51], s[14:15], -v[121:122]
	v_fma_f64 v[123:124], v[48:49], s[16:17], -v[123:124]
	v_fma_f64 v[74:75], v[48:49], s[14:15], v[125:126]
	v_fma_f64 v[125:126], v[48:49], s[14:15], -v[125:126]
	v_add_f64 v[54:55], v[2:3], v[54:55]
	v_add_f64 v[137:138], v[0:1], v[137:138]
	v_add_f64 v[95:96], v[2:3], v[95:96]
	v_add_f64 v[111:112], v[0:1], v[111:112]
	v_add_f64 v[131:132], v[2:3], v[131:132]
	v_add_f64 v[139:140], v[0:1], v[139:140]
	v_add_f64 v[99:100], v[2:3], v[99:100]
	v_add_f64 v[113:114], v[0:1], v[113:114]
	v_add_f64 v[133:134], v[2:3], v[133:134]
	v_add_f64 v[141:142], v[0:1], v[141:142]
	v_add_f64 v[103:104], v[2:3], v[103:104]
	v_add_f64 v[115:116], v[0:1], v[115:116]
	v_add_f64 v[135:136], v[2:3], v[135:136]
	v_add_f64 v[143:144], v[0:1], v[143:144]
	v_add_f64 v[105:106], v[2:3], v[105:106]
	v_add_f64 v[117:118], v[0:1], v[117:118]
	v_add_f64 v[153:154], v[2:3], v[153:154]
	v_add_f64 v[62:63], v[0:1], v[62:63]
	v_add_f64 v[2:3], v[2:3], v[10:11]
	v_add_f64 v[0:1], v[0:1], v[8:9]
	v_fma_f64 v[8:9], v[48:49], s[22:23], v[127:128]
	v_fma_f64 v[10:11], v[48:49], s[22:23], -v[127:128]
	v_fma_f64 v[127:128], v[48:49], s[18:19], v[58:59]
	v_fma_f64 v[48:49], v[48:49], s[18:19], -v[58:59]
	v_fma_f64 v[58:59], v[50:51], s[20:21], v[97:98]
	v_fma_f64 v[97:98], v[50:51], s[20:21], -v[97:98]
	v_fma_f64 v[155:156], v[50:51], s[16:17], v[129:130]
	v_fma_f64 v[129:130], v[50:51], s[16:17], -v[129:130]
	v_fma_f64 v[157:158], v[50:51], s[22:23], v[60:61]
	v_fma_f64 v[50:51], v[50:51], s[22:23], -v[60:61]
	v_add_f64 v[46:47], v[12:13], v[46:47]
	v_add_f64 v[12:13], v[12:13], v[36:37]
	v_mul_f64 v[60:61], v[70:71], s[6:7]
	v_mul_f64 v[159:160], v[70:71], s[24:25]
	;; [unrolled: 1-line block ×6, first 2 shown]
	v_add_f64 v[177:178], v[16:17], v[32:33]
	v_mul_f64 v[189:190], v[56:57], s[6:7]
	v_mul_f64 v[191:192], v[56:57], s[4:5]
	v_add_f64 v[193:194], v[22:23], v[26:27]
	v_add_f64 v[14:15], v[18:19], v[14:15]
	v_add_f64 v[18:19], v[4:5], -v[28:29]
	v_add_f64 v[211:212], v[6:7], v[30:31]
	v_add_f64 v[6:7], v[6:7], -v[30:31]
	v_add_f64 v[4:5], v[4:5], v[28:29]
	v_add_f64 v[16:17], v[16:17], v[46:47]
	v_fma_f64 v[167:168], v[12:13], s[20:21], -v[101:102]
	v_fma_f64 v[163:164], v[12:13], s[18:19], -v[60:61]
	v_fma_f64 v[60:61], v[12:13], s[18:19], v[60:61]
	v_fma_f64 v[165:166], v[12:13], s[14:15], -v[159:160]
	v_fma_f64 v[159:160], v[12:13], s[14:15], v[159:160]
	v_fma_f64 v[101:102], v[12:13], s[20:21], v[101:102]
	v_fma_f64 v[169:170], v[12:13], s[16:17], -v[161:162]
	v_fma_f64 v[161:162], v[12:13], s[16:17], v[161:162]
	v_fma_f64 v[171:172], v[12:13], s[22:23], -v[70:71]
	v_fma_f64 v[12:13], v[12:13], s[22:23], v[70:71]
	v_mul_f64 v[70:71], v[64:65], s[8:9]
	v_mul_f64 v[64:65], v[64:65], s[6:7]
	v_fma_f64 v[179:180], v[177:178], s[20:21], -v[76:77]
	v_fma_f64 v[76:77], v[177:178], s[20:21], v[76:77]
	v_fma_f64 v[183:184], v[177:178], s[14:15], -v[173:174]
	v_fma_f64 v[173:174], v[177:178], s[14:15], v[173:174]
	;; [unrolled: 2-line block ×3, first 2 shown]
	v_fma_f64 v[197:198], v[193:194], s[20:21], v[80:81]
	v_fma_f64 v[80:81], v[193:194], s[20:21], -v[80:81]
	v_fma_f64 v[199:200], v[193:194], s[18:19], v[189:190]
	v_fma_f64 v[189:190], v[193:194], s[18:19], -v[189:190]
	;; [unrolled: 2-line block ×3, first 2 shown]
	v_mul_f64 v[205:206], v[18:19], s[26:27]
	v_mul_f64 v[207:208], v[18:19], s[28:29]
	;; [unrolled: 1-line block ×3, first 2 shown]
	v_add_f64 v[14:15], v[22:23], v[14:15]
	v_mul_f64 v[22:23], v[6:7], s[4:5]
	v_mul_f64 v[46:47], v[6:7], s[26:27]
	;; [unrolled: 1-line block ×3, first 2 shown]
	v_fma_f64 v[181:182], v[177:178], s[16:17], -v[70:71]
	v_fma_f64 v[70:71], v[177:178], s[16:17], v[70:71]
	v_fma_f64 v[187:188], v[177:178], s[18:19], -v[64:65]
	v_fma_f64 v[64:65], v[177:178], s[18:19], v[64:65]
	v_mul_f64 v[177:178], v[56:57], s[0:1]
	v_mul_f64 v[56:57], v[56:57], s[8:9]
	v_fma_f64 v[215:216], v[211:212], s[22:23], v[205:206]
	v_fma_f64 v[205:206], v[211:212], s[22:23], -v[205:206]
	v_fma_f64 v[217:218], v[211:212], s[16:17], v[207:208]
	v_fma_f64 v[207:208], v[211:212], s[16:17], -v[207:208]
	;; [unrolled: 2-line block ×3, first 2 shown]
	v_fma_f64 v[225:226], v[4:5], s[14:15], -v[22:23]
	v_fma_f64 v[22:23], v[4:5], s[14:15], v[22:23]
	v_fma_f64 v[227:228], v[4:5], s[22:23], -v[46:47]
	v_fma_f64 v[46:47], v[4:5], s[22:23], v[46:47]
	;; [unrolled: 2-line block ×3, first 2 shown]
	v_fma_f64 v[195:196], v[193:194], s[22:23], v[177:178]
	v_fma_f64 v[177:178], v[193:194], s[22:23], -v[177:178]
	v_fma_f64 v[203:204], v[193:194], s[16:17], v[56:57]
	v_fma_f64 v[56:57], v[193:194], s[16:17], -v[56:57]
	v_mul_f64 v[193:194], v[18:19], s[4:5]
	v_mul_f64 v[18:19], v[18:19], s[12:13]
	v_add_f64 v[99:100], v[205:206], v[99:100]
	v_add_f64 v[103:104], v[207:208], v[103:104]
	;; [unrolled: 1-line block ×9, first 2 shown]
	v_fma_f64 v[213:214], v[211:212], s[14:15], v[193:194]
	v_fma_f64 v[193:194], v[211:212], s[14:15], -v[193:194]
	v_fma_f64 v[221:222], v[211:212], s[20:21], v[18:19]
	v_fma_f64 v[18:19], v[211:212], s[20:21], -v[18:19]
	v_mul_f64 v[211:212], v[6:7], s[28:29]
	v_mul_f64 v[6:7], v[6:7], s[12:13]
	v_add_f64 v[99:100], v[121:122], v[99:100]
	v_add_f64 v[97:98], v[97:98], v[103:104]
	;; [unrolled: 1-line block ×8, first 2 shown]
	v_fma_f64 v[229:230], v[4:5], s[16:17], -v[211:212]
	v_fma_f64 v[211:212], v[4:5], s[16:17], v[211:212]
	v_fma_f64 v[233:234], v[4:5], s[20:21], -v[6:7]
	v_fma_f64 v[4:5], v[4:5], s[20:21], v[6:7]
	v_add_f64 v[6:7], v[26:27], v[14:15]
	v_add_f64 v[14:15], v[20:21], v[16:17]
	v_add_f64 v[16:17], v[20:21], v[24:25]
	v_mul_f64 v[26:27], v[66:67], s[8:9]
	v_mul_f64 v[20:21], v[66:67], s[0:1]
	v_add_f64 v[105:106], v[219:220], v[153:154]
	v_add_f64 v[22:23], v[76:77], v[22:23]
	;; [unrolled: 1-line block ×7, first 2 shown]
	v_lshlrev_b64 v[50:51], 4, v[107:108]
	v_add_f64 v[115:116], v[211:212], v[115:116]
	v_add_f64 v[4:5], v[4:5], v[117:118]
	;; [unrolled: 1-line block ×4, first 2 shown]
	v_mul_f64 v[24:25], v[66:67], s[6:7]
	v_mul_f64 v[66:67], v[66:67], s[4:5]
	v_fma_f64 v[243:244], v[16:17], s[16:17], -v[26:27]
	v_fma_f64 v[235:236], v[16:17], s[22:23], -v[20:21]
	v_fma_f64 v[20:21], v[16:17], s[22:23], v[20:21]
	v_fma_f64 v[237:238], v[16:17], s[20:21], -v[82:83]
	v_fma_f64 v[82:83], v[16:17], s[20:21], v[82:83]
	v_add_f64 v[34:35], v[233:234], v[143:144]
	v_add_f64 v[48:49], v[48:49], v[18:19]
	;; [unrolled: 1-line block ×7, first 2 shown]
	v_fma_f64 v[239:240], v[16:17], s[18:19], -v[24:25]
	v_fma_f64 v[241:242], v[16:17], s[18:19], v[24:25]
	v_fma_f64 v[24:25], v[16:17], s[16:17], v[26:27]
	v_add_f64 v[26:27], v[213:214], v[54:55]
	v_fma_f64 v[245:246], v[16:17], s[14:15], -v[66:67]
	v_fma_f64 v[16:17], v[16:17], s[14:15], v[66:67]
	v_add_f64 v[54:55], v[225:226], v[137:138]
	v_add_f64 v[66:67], v[193:194], v[95:96]
	;; [unrolled: 1-line block ×13, first 2 shown]
	v_lshlrev_b64 v[62:63], 4, v[109:110]
	v_add_f64 v[54:55], v[163:164], v[54:55]
	v_add_f64 v[66:67], v[119:120], v[66:67]
	;; [unrolled: 1-line block ×12, first 2 shown]
	v_add_co_u32 v46, vcc_lo, v247, v50
	v_add_f64 v[26:27], v[147:148], v[26:27]
	v_add_co_ci_u32_e32 v47, vcc_lo, v248, v51, vcc_lo
	v_add_f64 v[38:39], v[179:180], v[54:55]
	v_add_f64 v[54:55], v[72:73], v[66:67]
	;; [unrolled: 1-line block ×11, first 2 shown]
	v_add_co_u32 v48, vcc_lo, v247, v62
	v_add_co_ci_u32_e32 v49, vcc_lo, v248, v63, vcc_lo
	v_add_f64 v[24:25], v[40:41], v[28:29]
	v_add_f64 v[40:41], v[245:246], v[105:106]
	v_add_co_u32 v50, vcc_lo, v247, v90
	v_add_f64 v[2:3], v[195:196], v[26:27]
	v_add_f64 v[26:27], v[42:43], v[30:31]
	;; [unrolled: 1-line block ×14, first 2 shown]
	v_add_co_ci_u32_e32 v51, vcc_lo, v248, v91, vcc_lo
	global_store_dwordx4 v[84:85], v[24:27], off
	global_store_dwordx4 v[86:87], v[20:23], off
	;; [unrolled: 1-line block ×11, first 2 shown]
.LBB0_16:
	s_endpgm
	.section	.rodata,"a",@progbits
	.p2align	6, 0x0
	.amdhsa_kernel fft_rtc_back_len66_factors_6_11_wgs_253_tpt_11_dp_op_CI_CI_sbrr_dirReg
		.amdhsa_group_segment_fixed_size 0
		.amdhsa_private_segment_fixed_size 0
		.amdhsa_kernarg_size 104
		.amdhsa_user_sgpr_count 6
		.amdhsa_user_sgpr_private_segment_buffer 1
		.amdhsa_user_sgpr_dispatch_ptr 0
		.amdhsa_user_sgpr_queue_ptr 0
		.amdhsa_user_sgpr_kernarg_segment_ptr 1
		.amdhsa_user_sgpr_dispatch_id 0
		.amdhsa_user_sgpr_flat_scratch_init 0
		.amdhsa_user_sgpr_private_segment_size 0
		.amdhsa_wavefront_size32 1
		.amdhsa_uses_dynamic_stack 0
		.amdhsa_system_sgpr_private_segment_wavefront_offset 0
		.amdhsa_system_sgpr_workgroup_id_x 1
		.amdhsa_system_sgpr_workgroup_id_y 0
		.amdhsa_system_sgpr_workgroup_id_z 0
		.amdhsa_system_sgpr_workgroup_info 0
		.amdhsa_system_vgpr_workitem_id 0
		.amdhsa_next_free_vgpr 249
		.amdhsa_next_free_sgpr 31
		.amdhsa_reserve_vcc 1
		.amdhsa_reserve_flat_scratch 0
		.amdhsa_float_round_mode_32 0
		.amdhsa_float_round_mode_16_64 0
		.amdhsa_float_denorm_mode_32 3
		.amdhsa_float_denorm_mode_16_64 3
		.amdhsa_dx10_clamp 1
		.amdhsa_ieee_mode 1
		.amdhsa_fp16_overflow 0
		.amdhsa_workgroup_processor_mode 1
		.amdhsa_memory_ordered 1
		.amdhsa_forward_progress 0
		.amdhsa_shared_vgpr_count 0
		.amdhsa_exception_fp_ieee_invalid_op 0
		.amdhsa_exception_fp_denorm_src 0
		.amdhsa_exception_fp_ieee_div_zero 0
		.amdhsa_exception_fp_ieee_overflow 0
		.amdhsa_exception_fp_ieee_underflow 0
		.amdhsa_exception_fp_ieee_inexact 0
		.amdhsa_exception_int_div_zero 0
	.end_amdhsa_kernel
	.text
.Lfunc_end0:
	.size	fft_rtc_back_len66_factors_6_11_wgs_253_tpt_11_dp_op_CI_CI_sbrr_dirReg, .Lfunc_end0-fft_rtc_back_len66_factors_6_11_wgs_253_tpt_11_dp_op_CI_CI_sbrr_dirReg
                                        ; -- End function
	.section	.AMDGPU.csdata,"",@progbits
; Kernel info:
; codeLenInByte = 6056
; NumSgprs: 33
; NumVgprs: 249
; ScratchSize: 0
; MemoryBound: 1
; FloatMode: 240
; IeeeMode: 1
; LDSByteSize: 0 bytes/workgroup (compile time only)
; SGPRBlocks: 4
; VGPRBlocks: 31
; NumSGPRsForWavesPerEU: 33
; NumVGPRsForWavesPerEU: 249
; Occupancy: 4
; WaveLimiterHint : 1
; COMPUTE_PGM_RSRC2:SCRATCH_EN: 0
; COMPUTE_PGM_RSRC2:USER_SGPR: 6
; COMPUTE_PGM_RSRC2:TRAP_HANDLER: 0
; COMPUTE_PGM_RSRC2:TGID_X_EN: 1
; COMPUTE_PGM_RSRC2:TGID_Y_EN: 0
; COMPUTE_PGM_RSRC2:TGID_Z_EN: 0
; COMPUTE_PGM_RSRC2:TIDIG_COMP_CNT: 0
	.text
	.p2alignl 6, 3214868480
	.fill 48, 4, 3214868480
	.type	__hip_cuid_b79872b64461ba3,@object ; @__hip_cuid_b79872b64461ba3
	.section	.bss,"aw",@nobits
	.globl	__hip_cuid_b79872b64461ba3
__hip_cuid_b79872b64461ba3:
	.byte	0                               ; 0x0
	.size	__hip_cuid_b79872b64461ba3, 1

	.ident	"AMD clang version 19.0.0git (https://github.com/RadeonOpenCompute/llvm-project roc-6.4.0 25133 c7fe45cf4b819c5991fe208aaa96edf142730f1d)"
	.section	".note.GNU-stack","",@progbits
	.addrsig
	.addrsig_sym __hip_cuid_b79872b64461ba3
	.amdgpu_metadata
---
amdhsa.kernels:
  - .args:
      - .actual_access:  read_only
        .address_space:  global
        .offset:         0
        .size:           8
        .value_kind:     global_buffer
      - .offset:         8
        .size:           8
        .value_kind:     by_value
      - .actual_access:  read_only
        .address_space:  global
        .offset:         16
        .size:           8
        .value_kind:     global_buffer
      - .actual_access:  read_only
        .address_space:  global
        .offset:         24
        .size:           8
        .value_kind:     global_buffer
      - .actual_access:  read_only
        .address_space:  global
        .offset:         32
        .size:           8
        .value_kind:     global_buffer
      - .offset:         40
        .size:           8
        .value_kind:     by_value
      - .actual_access:  read_only
        .address_space:  global
        .offset:         48
        .size:           8
        .value_kind:     global_buffer
      - .actual_access:  read_only
        .address_space:  global
        .offset:         56
        .size:           8
        .value_kind:     global_buffer
      - .offset:         64
        .size:           4
        .value_kind:     by_value
      - .actual_access:  read_only
        .address_space:  global
        .offset:         72
        .size:           8
        .value_kind:     global_buffer
      - .actual_access:  read_only
        .address_space:  global
        .offset:         80
        .size:           8
        .value_kind:     global_buffer
      - .actual_access:  read_only
        .address_space:  global
        .offset:         88
        .size:           8
        .value_kind:     global_buffer
      - .actual_access:  write_only
        .address_space:  global
        .offset:         96
        .size:           8
        .value_kind:     global_buffer
    .group_segment_fixed_size: 0
    .kernarg_segment_align: 8
    .kernarg_segment_size: 104
    .language:       OpenCL C
    .language_version:
      - 2
      - 0
    .max_flat_workgroup_size: 253
    .name:           fft_rtc_back_len66_factors_6_11_wgs_253_tpt_11_dp_op_CI_CI_sbrr_dirReg
    .private_segment_fixed_size: 0
    .sgpr_count:     33
    .sgpr_spill_count: 0
    .symbol:         fft_rtc_back_len66_factors_6_11_wgs_253_tpt_11_dp_op_CI_CI_sbrr_dirReg.kd
    .uniform_work_group_size: 1
    .uses_dynamic_stack: false
    .vgpr_count:     249
    .vgpr_spill_count: 0
    .wavefront_size: 32
    .workgroup_processor_mode: 1
amdhsa.target:   amdgcn-amd-amdhsa--gfx1030
amdhsa.version:
  - 1
  - 2
...

	.end_amdgpu_metadata
